;; amdgpu-corpus repo=ROCm/rocFFT kind=compiled arch=gfx1030 opt=O3
	.text
	.amdgcn_target "amdgcn-amd-amdhsa--gfx1030"
	.amdhsa_code_object_version 6
	.protected	bluestein_single_fwd_len180_dim1_sp_op_CI_CI ; -- Begin function bluestein_single_fwd_len180_dim1_sp_op_CI_CI
	.globl	bluestein_single_fwd_len180_dim1_sp_op_CI_CI
	.p2align	8
	.type	bluestein_single_fwd_len180_dim1_sp_op_CI_CI,@function
bluestein_single_fwd_len180_dim1_sp_op_CI_CI: ; @bluestein_single_fwd_len180_dim1_sp_op_CI_CI
; %bb.0:
	s_load_dwordx4 s[0:3], s[4:5], 0x28
	v_mul_u32_u24_e32 v1, 0x445, v0
	v_mov_b32_e32 v33, 0
	v_lshrrev_b32_e32 v1, 16, v1
	v_lshl_add_u32 v32, s6, 2, v1
	s_waitcnt lgkmcnt(0)
	v_cmp_gt_u64_e32 vcc_lo, s[0:1], v[32:33]
	s_and_saveexec_b32 s0, vcc_lo
	s_cbranch_execz .LBB0_23
; %bb.1:
	v_mul_lo_u16 v2, v1, 60
	s_clause 0x1
	s_load_dwordx2 s[10:11], s[4:5], 0x0
	s_load_dwordx2 s[8:9], s[4:5], 0x38
	v_and_b32_e32 v1, 3, v1
	v_sub_nc_u16 v0, v0, v2
	v_mul_u32_u24_e32 v35, 0xb4, v1
	v_and_b32_e32 v37, 0xffff, v0
	v_cmp_gt_u16_e32 vcc_lo, 18, v0
	v_lshlrev_b32_e32 v38, 3, v35
	v_lshlrev_b32_e32 v36, 3, v37
	s_and_saveexec_b32 s1, vcc_lo
	s_cbranch_execz .LBB0_3
; %bb.2:
	s_load_dwordx2 s[6:7], s[4:5], 0x18
	v_lshl_add_u32 v47, v37, 3, v38
	v_add_nc_u32_e32 v48, v38, v36
	s_waitcnt lgkmcnt(0)
	s_load_dwordx4 s[12:15], s[6:7], 0x0
	s_waitcnt lgkmcnt(0)
	v_mad_u64_u32 v[0:1], null, s14, v32, 0
	v_mad_u64_u32 v[2:3], null, s12, v37, 0
	s_mul_i32 s6, s13, 0x90
	s_mul_hi_u32 s7, s12, 0x90
	s_add_i32 s7, s7, s6
	v_mad_u64_u32 v[4:5], null, s15, v32, v[1:2]
	v_mad_u64_u32 v[5:6], null, s13, v37, v[3:4]
	v_mov_b32_e32 v1, v4
	v_lshlrev_b64 v[0:1], 3, v[0:1]
	v_mov_b32_e32 v3, v5
	s_clause 0x3
	global_load_dwordx2 v[4:5], v36, s[10:11]
	global_load_dwordx2 v[6:7], v36, s[10:11] offset:144
	global_load_dwordx2 v[8:9], v36, s[10:11] offset:288
	;; [unrolled: 1-line block ×3, first 2 shown]
	v_add_co_u32 v0, s0, s2, v0
	v_lshlrev_b64 v[2:3], 3, v[2:3]
	v_add_co_ci_u32_e64 v1, s0, s3, v1, s0
	s_mul_i32 s2, s12, 0x90
	v_add_co_u32 v0, s0, v0, v2
	v_add_co_ci_u32_e64 v1, s0, v1, v3, s0
	v_add_co_u32 v2, s0, v0, s2
	v_add_co_ci_u32_e64 v3, s0, s7, v1, s0
	global_load_dwordx2 v[0:1], v[0:1], off
	v_add_co_u32 v12, s0, v2, s2
	v_add_co_ci_u32_e64 v13, s0, s7, v3, s0
	s_clause 0x3
	global_load_dwordx2 v[16:17], v36, s[10:11] offset:576
	global_load_dwordx2 v[18:19], v36, s[10:11] offset:720
	;; [unrolled: 1-line block ×4, first 2 shown]
	v_add_co_u32 v14, s0, v12, s2
	v_add_co_ci_u32_e64 v15, s0, s7, v13, s0
	v_add_co_u32 v24, s0, v14, s2
	v_add_co_ci_u32_e64 v25, s0, s7, v15, s0
	s_clause 0x2
	global_load_dwordx2 v[2:3], v[2:3], off
	global_load_dwordx2 v[12:13], v[12:13], off
	;; [unrolled: 1-line block ×3, first 2 shown]
	v_add_co_u32 v26, s0, v24, s2
	v_add_co_ci_u32_e64 v27, s0, s7, v25, s0
	global_load_dwordx2 v[24:25], v[24:25], off
	v_add_co_u32 v28, s0, v26, s2
	v_add_co_ci_u32_e64 v29, s0, s7, v27, s0
	global_load_dwordx2 v[26:27], v[26:27], off
	;; [unrolled: 3-line block ×5, first 2 shown]
	s_clause 0x1
	global_load_dwordx2 v[41:42], v36, s[10:11] offset:1152
	global_load_dwordx2 v[43:44], v36, s[10:11] offset:1296
	global_load_dwordx2 v[39:40], v[39:40], off
	s_waitcnt vmcnt(15)
	v_mul_f32_e32 v45, v1, v5
	v_mul_f32_e32 v5, v0, v5
	v_fmac_f32_e32 v45, v0, v4
	v_fma_f32 v46, v1, v4, -v5
	ds_write_b64 v47, v[45:46]
	s_waitcnt vmcnt(10)
	v_mul_f32_e32 v0, v3, v7
	v_mul_f32_e32 v1, v2, v7
	s_waitcnt vmcnt(9)
	v_mul_f32_e32 v4, v13, v9
	s_waitcnt vmcnt(8)
	v_mul_f32_e32 v7, v14, v11
	v_fmac_f32_e32 v0, v2, v6
	v_fma_f32 v1, v3, v6, -v1
	v_mul_f32_e32 v3, v12, v9
	v_mul_f32_e32 v2, v15, v11
	s_waitcnt vmcnt(7)
	v_mul_f32_e32 v9, v24, v17
	v_mul_f32_e32 v6, v25, v17
	v_fmac_f32_e32 v4, v12, v8
	v_fma_f32 v5, v13, v8, -v3
	v_fmac_f32_e32 v2, v14, v10
	v_fma_f32 v3, v15, v10, -v7
	s_waitcnt vmcnt(6)
	v_mul_f32_e32 v8, v27, v19
	v_fma_f32 v7, v25, v16, -v9
	v_mul_f32_e32 v9, v26, v19
	s_waitcnt vmcnt(5)
	v_mul_f32_e32 v10, v29, v21
	v_mul_f32_e32 v11, v28, v21
	v_fmac_f32_e32 v6, v24, v16
	v_fmac_f32_e32 v8, v26, v18
	s_waitcnt vmcnt(4)
	v_mul_f32_e32 v12, v31, v23
	v_mul_f32_e32 v13, v30, v23
	v_fma_f32 v9, v27, v18, -v9
	s_waitcnt vmcnt(2)
	v_mul_f32_e32 v14, v34, v42
	v_mul_f32_e32 v15, v33, v42
	s_waitcnt vmcnt(0)
	v_mul_f32_e32 v16, v40, v44
	v_mul_f32_e32 v17, v39, v44
	v_fmac_f32_e32 v10, v28, v20
	v_fma_f32 v11, v29, v20, -v11
	v_fmac_f32_e32 v12, v30, v22
	v_fma_f32 v13, v31, v22, -v13
	;; [unrolled: 2-line block ×4, first 2 shown]
	ds_write2_b64 v48, v[0:1], v[4:5] offset0:18 offset1:36
	ds_write2_b64 v48, v[2:3], v[6:7] offset0:54 offset1:72
	;; [unrolled: 1-line block ×4, first 2 shown]
	ds_write_b64 v48, v[16:17] offset:1296
.LBB0_3:
	s_or_b32 exec_lo, exec_lo, s1
	s_waitcnt lgkmcnt(0)
	s_barrier
	buffer_gl0_inv
                                        ; implicit-def: $vgpr0
                                        ; implicit-def: $vgpr4
                                        ; implicit-def: $vgpr16
                                        ; implicit-def: $vgpr12
                                        ; implicit-def: $vgpr8
	s_and_saveexec_b32 s0, vcc_lo
	s_cbranch_execz .LBB0_5
; %bb.4:
	v_lshl_add_u32 v8, v35, 3, v36
	ds_read2_b64 v[0:3], v8 offset1:18
	ds_read2_b64 v[4:7], v8 offset0:36 offset1:54
	ds_read2_b64 v[16:19], v8 offset0:72 offset1:90
	;; [unrolled: 1-line block ×4, first 2 shown]
.LBB0_5:
	s_or_b32 exec_lo, exec_lo, s0
	s_waitcnt lgkmcnt(3)
	v_add_f32_e32 v21, v0, v4
	s_waitcnt lgkmcnt(1)
	v_add_f32_e32 v20, v16, v12
	s_waitcnt lgkmcnt(0)
	v_sub_f32_e32 v22, v5, v9
	v_sub_f32_e32 v23, v17, v13
	;; [unrolled: 1-line block ×3, first 2 shown]
	v_add_f32_e32 v21, v21, v16
	v_fma_f32 v27, -0.5, v20, v0
	v_sub_f32_e32 v20, v8, v12
	v_add_f32_e32 v25, v4, v8
	v_sub_f32_e32 v26, v16, v4
	v_add_f32_e32 v21, v21, v12
	v_fmamk_f32 v28, v22, 0x3f737871, v27
	v_fmac_f32_e32 v27, 0xbf737871, v22
	v_add_f32_e32 v20, v24, v20
	v_fmac_f32_e32 v0, -0.5, v25
	v_add_f32_e32 v30, v21, v8
	v_add_f32_e32 v21, v1, v5
	v_fmac_f32_e32 v28, 0x3f167918, v23
	v_fmac_f32_e32 v27, 0xbf167918, v23
	v_add_f32_e32 v25, v17, v13
	v_sub_f32_e32 v24, v12, v8
	v_add_f32_e32 v21, v21, v17
	v_fmac_f32_e32 v28, 0x3e9e377a, v20
	v_sub_f32_e32 v4, v4, v8
	v_fma_f32 v31, -0.5, v25, v1
	v_fmac_f32_e32 v27, 0x3e9e377a, v20
	v_add_f32_e32 v8, v21, v13
	v_add_f32_e32 v20, v5, v9
	v_sub_f32_e32 v12, v16, v12
	v_fmamk_f32 v33, v4, 0xbf737871, v31
	v_sub_f32_e32 v16, v5, v17
	v_sub_f32_e32 v21, v9, v13
	v_fmac_f32_e32 v1, -0.5, v20
	v_add_f32_e32 v34, v8, v9
	v_fmac_f32_e32 v31, 0x3f737871, v4
	v_sub_f32_e32 v5, v17, v5
	v_sub_f32_e32 v9, v13, v9
	v_add_f32_e32 v13, v2, v6
	v_fmac_f32_e32 v33, 0xbf167918, v12
	v_add_f32_e32 v8, v16, v21
	v_fmamk_f32 v39, v12, 0x3f737871, v1
	v_fmac_f32_e32 v31, 0x3f167918, v12
	v_add_f32_e32 v5, v5, v9
	v_fmac_f32_e32 v1, 0xbf737871, v12
	v_add_f32_e32 v9, v13, v18
	v_add_f32_e32 v12, v18, v14
	v_fmac_f32_e32 v33, 0x3e9e377a, v8
	v_fmac_f32_e32 v39, 0xbf167918, v4
	;; [unrolled: 1-line block ×4, first 2 shown]
	v_add_f32_e32 v4, v9, v14
	v_fma_f32 v9, -0.5, v12, v2
	v_add_f32_e32 v8, v6, v10
	v_sub_f32_e32 v12, v7, v11
	v_fmac_f32_e32 v39, 0x3e9e377a, v5
	v_fmac_f32_e32 v1, 0x3e9e377a, v5
	v_sub_f32_e32 v5, v19, v15
	v_fmac_f32_e32 v2, -0.5, v8
	v_fmamk_f32 v13, v12, 0x3f737871, v9
	v_sub_f32_e32 v8, v6, v18
	v_sub_f32_e32 v16, v10, v14
	v_fmac_f32_e32 v9, 0xbf737871, v12
	v_fmamk_f32 v17, v5, 0xbf737871, v2
	v_fmac_f32_e32 v13, 0x3f167918, v5
	v_sub_f32_e32 v20, v18, v6
	v_add_f32_e32 v8, v8, v16
	v_fmac_f32_e32 v9, 0xbf167918, v5
	v_sub_f32_e32 v21, v14, v10
	v_fmac_f32_e32 v2, 0x3f737871, v5
	v_add_f32_e32 v5, v19, v15
	v_fmac_f32_e32 v13, 0x3e9e377a, v8
	v_fmac_f32_e32 v9, 0x3e9e377a, v8
	v_add_f32_e32 v8, v7, v11
	v_add_f32_e32 v4, v4, v10
	v_fmac_f32_e32 v17, 0x3f167918, v12
	v_add_f32_e32 v16, v20, v21
	v_fmac_f32_e32 v2, 0xbf167918, v12
	v_add_f32_e32 v12, v3, v7
	v_fma_f32 v5, -0.5, v5, v3
	v_sub_f32_e32 v6, v6, v10
	v_sub_f32_e32 v10, v18, v14
	v_fmac_f32_e32 v3, -0.5, v8
	v_fmac_f32_e32 v17, 0x3e9e377a, v16
	v_fmac_f32_e32 v2, 0x3e9e377a, v16
	v_add_f32_e32 v8, v12, v19
	v_fmamk_f32 v12, v6, 0xbf737871, v5
	v_sub_f32_e32 v14, v7, v19
	v_fmamk_f32 v16, v10, 0x3f737871, v3
	v_sub_f32_e32 v7, v19, v7
	v_sub_f32_e32 v18, v15, v11
	;; [unrolled: 1-line block ×3, first 2 shown]
	v_fmac_f32_e32 v3, 0xbf737871, v10
	v_fmac_f32_e32 v5, 0x3f737871, v6
	;; [unrolled: 1-line block ×3, first 2 shown]
	v_add_f32_e32 v7, v7, v18
	v_add_f32_e32 v14, v14, v19
	v_fmac_f32_e32 v3, 0x3f167918, v6
	v_add_f32_e32 v6, v8, v15
	v_fmac_f32_e32 v5, 0x3f167918, v10
	v_fmamk_f32 v29, v23, 0xbf737871, v0
	v_fmac_f32_e32 v0, 0x3f737871, v23
	v_fmac_f32_e32 v12, 0xbf167918, v10
	;; [unrolled: 1-line block ×4, first 2 shown]
	v_mul_f32_e32 v8, 0x3e9e377a, v2
	v_add_f32_e32 v6, v6, v11
	v_fmac_f32_e32 v5, 0x3e9e377a, v14
	v_mul_f32_e32 v11, 0x3f4f1bbd, v9
	v_fmac_f32_e32 v29, 0x3f167918, v22
	v_add_f32_e32 v24, v26, v24
	v_fmac_f32_e32 v0, 0xbf167918, v22
	v_fmac_f32_e32 v12, 0x3e9e377a, v14
	v_mul_f32_e32 v7, 0x3f4f1bbd, v13
	v_mul_f32_e32 v15, 0x3f737871, v16
	v_fma_f32 v14, 0x3f737871, v3, -v8
	v_fma_f32 v19, 0x3f167918, v5, -v11
	v_mul_f32_e32 v13, 0xbf167918, v13
	v_mul_f32_e32 v40, 0xbf737871, v17
	;; [unrolled: 1-line block ×4, first 2 shown]
	v_fmac_f32_e32 v29, 0x3e9e377a, v24
	v_fmac_f32_e32 v0, 0x3e9e377a, v24
	;; [unrolled: 1-line block ×6, first 2 shown]
	v_fma_f32 v2, 0xbf737871, v2, -v3
	v_fma_f32 v3, 0xbf167918, v9, -v5
	v_add_f32_e32 v8, v30, v4
	v_add_f32_e32 v10, v28, v7
	v_add_f32_e32 v20, v29, v15
	v_add_f32_e32 v22, v0, v14
	v_add_f32_e32 v24, v27, v19
	v_add_f32_e32 v9, v34, v6
	v_add_f32_e32 v11, v33, v13
	v_add_f32_e32 v21, v39, v40
	v_add_f32_e32 v23, v1, v2
	v_add_f32_e32 v25, v31, v3
	v_sub_f32_e32 v26, v30, v4
	v_sub_f32_e32 v16, v28, v7
	;; [unrolled: 1-line block ×10, first 2 shown]
	v_mul_lo_u16 v42, v37, 10
	s_barrier
	buffer_gl0_inv
	s_and_saveexec_b32 s0, vcc_lo
	s_cbranch_execz .LBB0_7
; %bb.6:
	v_and_b32_e32 v0, 0xffff, v42
	v_add_lshl_u32 v0, v35, v0, 3
	ds_write_b128 v0, v[8:11]
	ds_write_b128 v0, v[20:23] offset:16
	ds_write_b128 v0, v[24:27] offset:32
	;; [unrolled: 1-line block ×4, first 2 shown]
.LBB0_7:
	s_or_b32 exec_lo, exec_lo, s0
	s_clause 0x1
	s_load_dwordx2 s[6:7], s[4:5], 0x20
	s_load_dwordx2 s[2:3], s[4:5], 0x8
	v_cmp_gt_u16_e64 s0, 30, v37
	v_add_lshl_u32 v39, v35, v37, 3
	s_waitcnt lgkmcnt(0)
	s_barrier
	buffer_gl0_inv
	s_and_saveexec_b32 s1, s0
	s_cbranch_execz .LBB0_9
; %bb.8:
	ds_read2_b64 v[8:11], v39 offset1:30
	ds_read2_b64 v[20:23], v39 offset0:60 offset1:90
	ds_read2_b64 v[24:27], v39 offset0:120 offset1:150
.LBB0_9:
	s_or_b32 exec_lo, exec_lo, s1
	v_and_b32_e32 v0, 0xff, v37
	v_mul_lo_u16 v0, 0xcd, v0
	v_lshrrev_b16 v43, 11, v0
	v_mul_lo_u16 v0, v43, 10
	v_mul_lo_u16 v43, v43, 60
	v_sub_nc_u16 v0, v37, v0
	v_and_b32_e32 v41, 0xff, v0
	v_mad_u64_u32 v[28:29], null, v41, 40, s[2:3]
	s_clause 0x2
	global_load_dwordx4 v[4:7], v[28:29], off
	global_load_dwordx4 v[0:3], v[28:29], off offset:16
	global_load_dwordx2 v[33:34], v[28:29], off offset:32
	s_waitcnt vmcnt(0) lgkmcnt(0)
	s_barrier
	buffer_gl0_inv
	v_mul_f32_e32 v28, v11, v5
	v_mul_f32_e32 v45, v10, v5
	;; [unrolled: 1-line block ×10, first 2 shown]
	v_fma_f32 v49, v10, v4, -v28
	v_fmac_f32_e32 v45, v11, v4
	v_fma_f32 v10, v20, v6, -v29
	v_fmac_f32_e32 v30, v21, v6
	;; [unrolled: 2-line block ×5, first 2 shown]
	v_add_f32_e32 v25, v9, v30
	v_add_f32_e32 v23, v10, v20
	v_sub_f32_e32 v24, v30, v46
	v_add_f32_e32 v26, v30, v46
	v_add_f32_e32 v29, v11, v21
	v_sub_f32_e32 v30, v40, v48
	v_add_f32_e32 v31, v45, v40
	v_add_f32_e32 v40, v40, v48
	v_add_f32_e32 v22, v8, v10
	v_add_f32_e32 v28, v49, v11
	v_sub_f32_e32 v44, v11, v21
	v_fmac_f32_e32 v8, -0.5, v23
	v_fmac_f32_e32 v49, -0.5, v29
	;; [unrolled: 1-line block ×3, first 2 shown]
	v_sub_f32_e32 v27, v10, v20
	v_add_f32_e32 v10, v22, v20
	v_add_f32_e32 v20, v28, v21
	v_fmamk_f32 v21, v24, 0x3f5db3d7, v8
	v_fmac_f32_e32 v8, 0xbf5db3d7, v24
	v_fmamk_f32 v23, v30, 0x3f5db3d7, v49
	v_fmamk_f32 v24, v44, 0xbf5db3d7, v45
	v_fmac_f32_e32 v49, 0xbf5db3d7, v30
	v_fmac_f32_e32 v45, 0x3f5db3d7, v44
	v_fmac_f32_e32 v9, -0.5, v26
	v_add_f32_e32 v28, v31, v48
	v_mul_f32_e32 v30, 0x3f5db3d7, v24
	v_mul_f32_e32 v31, -0.5, v49
	v_mul_f32_e32 v40, 0xbf5db3d7, v23
	v_mul_f32_e32 v44, -0.5, v45
	v_add_f32_e32 v11, v25, v46
	v_fmamk_f32 v29, v27, 0xbf5db3d7, v9
	v_fmac_f32_e32 v9, 0x3f5db3d7, v27
	v_fmac_f32_e32 v30, 0.5, v23
	v_fmac_f32_e32 v31, 0x3f5db3d7, v45
	v_fmac_f32_e32 v40, 0.5, v24
	v_fmac_f32_e32 v44, 0xbf5db3d7, v49
	v_sub_f32_e32 v22, v10, v20
	v_sub_f32_e32 v23, v11, v28
	;; [unrolled: 1-line block ×6, first 2 shown]
	s_and_saveexec_b32 s1, s0
	s_cbranch_execz .LBB0_11
; %bb.10:
	v_and_b32_e32 v45, 0xfc, v43
	v_add_f32_e32 v9, v9, v44
	v_add_f32_e32 v29, v29, v40
	v_add_f32_e32 v11, v11, v28
	v_add_f32_e32 v28, v21, v30
	v_add_nc_u32_e32 v44, v45, v41
	v_add_f32_e32 v10, v10, v20
	v_add_f32_e32 v8, v8, v31
	v_add_lshl_u32 v20, v35, v44, 3
	ds_write2_b64 v20, v[10:11], v[28:29] offset1:10
	ds_write2_b64 v20, v[8:9], v[22:23] offset0:20 offset1:30
	ds_write2_b64 v20, v[24:25], v[26:27] offset0:40 offset1:50
.LBB0_11:
	s_or_b32 exec_lo, exec_lo, s1
	v_lshlrev_b32_e32 v8, 4, v37
	s_load_dwordx4 s[4:7], s[6:7], 0x0
	s_waitcnt lgkmcnt(0)
	s_barrier
	buffer_gl0_inv
	global_load_dwordx4 v[8:11], v8, s[2:3] offset:400
	ds_read2_b64 v[28:31], v39 offset1:60
	ds_read_b64 v[20:21], v39 offset:960
	s_waitcnt vmcnt(0) lgkmcnt(1)
	v_mul_f32_e32 v40, v31, v9
	s_waitcnt lgkmcnt(0)
	v_mul_f32_e32 v44, v21, v11
	v_mul_f32_e32 v45, v30, v9
	;; [unrolled: 1-line block ×3, first 2 shown]
	v_fma_f32 v30, v30, v8, -v40
	v_fma_f32 v44, v20, v10, -v44
	v_fmac_f32_e32 v45, v31, v8
	v_fmac_f32_e32 v46, v21, v10
	v_lshl_add_u32 v40, v37, 3, v38
	v_add_f32_e32 v31, v28, v30
	v_add_f32_e32 v20, v30, v44
	v_sub_f32_e32 v48, v30, v44
	v_add_f32_e32 v21, v45, v46
	v_sub_f32_e32 v47, v45, v46
	v_add_f32_e32 v45, v29, v45
	v_fma_f32 v20, -0.5, v20, v28
	v_add_f32_e32 v28, v31, v44
	v_fma_f32 v21, -0.5, v21, v29
	v_add_f32_e32 v29, v45, v46
	v_fmamk_f32 v30, v47, 0x3f5db3d7, v20
	v_fmac_f32_e32 v20, 0xbf5db3d7, v47
	v_fmamk_f32 v31, v48, 0xbf5db3d7, v21
	v_fmac_f32_e32 v21, 0x3f5db3d7, v48
	ds_write2_b64 v40, v[28:29], v[30:31] offset1:60
	ds_write_b64 v40, v[20:21] offset:960
	s_waitcnt lgkmcnt(0)
	s_barrier
	buffer_gl0_inv
	s_and_saveexec_b32 s1, vcc_lo
	s_cbranch_execz .LBB0_13
; %bb.12:
	s_add_u32 s2, s10, 0x5a0
	s_addc_u32 s3, s11, 0
	s_clause 0x9
	global_load_dwordx2 v[64:65], v36, s[10:11] offset:1440
	global_load_dwordx2 v[66:67], v36, s[2:3] offset:144
	;; [unrolled: 1-line block ×10, first 2 shown]
	ds_read2_b64 v[44:47], v40 offset1:18
	ds_read2_b64 v[48:51], v40 offset0:36 offset1:54
	ds_read2_b64 v[52:55], v40 offset0:72 offset1:90
	;; [unrolled: 1-line block ×4, first 2 shown]
	s_waitcnt vmcnt(9) lgkmcnt(4)
	v_mul_f32_e32 v85, v45, v65
	v_mul_f32_e32 v84, v44, v65
	s_waitcnt vmcnt(8)
	v_mul_f32_e32 v86, v47, v67
	v_mul_f32_e32 v65, v46, v67
	s_waitcnt vmcnt(7) lgkmcnt(3)
	v_mul_f32_e32 v87, v49, v69
	v_mul_f32_e32 v67, v48, v69
	s_waitcnt vmcnt(6)
	v_mul_f32_e32 v88, v51, v71
	v_mul_f32_e32 v69, v50, v71
	;; [unrolled: 6-line block ×5, first 2 shown]
	v_fma_f32 v83, v44, v64, -v85
	v_fmac_f32_e32 v84, v45, v64
	v_fma_f32 v64, v46, v66, -v86
	v_fmac_f32_e32 v65, v47, v66
	;; [unrolled: 2-line block ×10, first 2 shown]
	ds_write2_b64 v40, v[83:84], v[64:65] offset1:18
	ds_write2_b64 v40, v[66:67], v[68:69] offset0:36 offset1:54
	ds_write2_b64 v40, v[70:71], v[72:73] offset0:72 offset1:90
	;; [unrolled: 1-line block ×4, first 2 shown]
.LBB0_13:
	s_or_b32 exec_lo, exec_lo, s1
	s_waitcnt lgkmcnt(0)
	s_barrier
	buffer_gl0_inv
	s_and_saveexec_b32 s1, vcc_lo
	s_cbranch_execz .LBB0_15
; %bb.14:
	ds_read2_b64 v[28:31], v40 offset1:18
	ds_read2_b64 v[20:23], v40 offset0:36 offset1:54
	ds_read2_b64 v[24:27], v40 offset0:72 offset1:90
	;; [unrolled: 1-line block ×4, first 2 shown]
.LBB0_15:
	s_or_b32 exec_lo, exec_lo, s1
	s_waitcnt lgkmcnt(3)
	v_add_f32_e32 v45, v28, v20
	s_waitcnt lgkmcnt(1)
	v_add_f32_e32 v44, v24, v16
	s_waitcnt lgkmcnt(0)
	v_add_f32_e32 v50, v20, v12
	v_sub_f32_e32 v48, v21, v13
	v_sub_f32_e32 v47, v25, v17
	v_add_f32_e32 v51, v45, v24
	v_fma_f32 v44, -0.5, v44, v28
	v_fmac_f32_e32 v28, -0.5, v50
	v_sub_f32_e32 v46, v20, v24
	v_sub_f32_e32 v49, v12, v16
	v_add_f32_e32 v50, v51, v16
	v_fmamk_f32 v45, v48, 0xbf737871, v44
	v_fmac_f32_e32 v44, 0x3f737871, v48
	v_add_f32_e32 v54, v25, v17
	v_add_f32_e32 v49, v46, v49
	;; [unrolled: 1-line block ×4, first 2 shown]
	v_fmac_f32_e32 v45, 0xbf167918, v47
	v_fmac_f32_e32 v44, 0x3f167918, v47
	v_sub_f32_e32 v52, v24, v20
	v_sub_f32_e32 v51, v16, v12
	v_add_f32_e32 v50, v50, v25
	v_fmamk_f32 v46, v47, 0x3f737871, v28
	v_fmac_f32_e32 v45, 0x3e9e377a, v49
	v_fmac_f32_e32 v28, 0xbf737871, v47
	v_fma_f32 v47, -0.5, v54, v29
	v_sub_f32_e32 v12, v20, v12
	v_fmac_f32_e32 v44, 0x3e9e377a, v49
	v_add_f32_e32 v20, v50, v17
	v_add_f32_e32 v49, v21, v13
	v_fmac_f32_e32 v46, 0xbf167918, v48
	v_fmac_f32_e32 v28, 0x3f167918, v48
	v_fmamk_f32 v48, v12, 0x3f737871, v47
	v_sub_f32_e32 v16, v24, v16
	v_sub_f32_e32 v24, v21, v25
	;; [unrolled: 1-line block ×3, first 2 shown]
	v_fmac_f32_e32 v29, -0.5, v49
	v_add_f32_e32 v54, v20, v13
	v_fmac_f32_e32 v47, 0xbf737871, v12
	v_sub_f32_e32 v13, v17, v13
	v_add_f32_e32 v17, v30, v22
	v_fmac_f32_e32 v48, 0x3f167918, v16
	v_add_f32_e32 v20, v24, v50
	v_fmamk_f32 v24, v16, 0xbf737871, v29
	v_sub_f32_e32 v21, v25, v21
	v_fmac_f32_e32 v47, 0xbf167918, v16
	v_fmac_f32_e32 v29, 0x3f737871, v16
	v_add_f32_e32 v16, v17, v26
	v_add_f32_e32 v17, v26, v18
	v_fmac_f32_e32 v48, 0x3e9e377a, v20
	v_fmac_f32_e32 v24, 0x3f167918, v12
	v_add_f32_e32 v13, v21, v13
	v_fmac_f32_e32 v47, 0x3e9e377a, v20
	v_fmac_f32_e32 v29, 0xbf167918, v12
	v_add_f32_e32 v12, v16, v18
	v_fma_f32 v17, -0.5, v17, v30
	v_add_f32_e32 v16, v22, v14
	v_sub_f32_e32 v20, v23, v15
	v_fmac_f32_e32 v24, 0x3e9e377a, v13
	v_fmac_f32_e32 v29, 0x3e9e377a, v13
	v_add_f32_e32 v55, v12, v14
	v_sub_f32_e32 v12, v27, v19
	v_fmac_f32_e32 v30, -0.5, v16
	v_fmamk_f32 v13, v20, 0xbf737871, v17
	v_sub_f32_e32 v16, v22, v26
	v_sub_f32_e32 v21, v14, v18
	v_fmac_f32_e32 v17, 0x3f737871, v20
	v_fmamk_f32 v56, v12, 0x3f737871, v30
	v_fmac_f32_e32 v13, 0xbf167918, v12
	v_sub_f32_e32 v25, v26, v22
	v_add_f32_e32 v16, v16, v21
	v_fmac_f32_e32 v17, 0x3f167918, v12
	v_sub_f32_e32 v49, v18, v14
	v_fmac_f32_e32 v30, 0xbf737871, v12
	v_add_f32_e32 v12, v27, v19
	v_fmac_f32_e32 v13, 0x3e9e377a, v16
	v_fmac_f32_e32 v17, 0x3e9e377a, v16
	v_add_f32_e32 v16, v23, v15
	v_add_f32_e32 v51, v52, v51
	v_fmac_f32_e32 v56, 0xbf167918, v20
	v_add_f32_e32 v21, v25, v49
	v_fmac_f32_e32 v30, 0x3f167918, v20
	v_fma_f32 v20, -0.5, v12, v31
	v_sub_f32_e32 v12, v22, v14
	v_add_f32_e32 v14, v31, v23
	v_sub_f32_e32 v18, v26, v18
	v_fmac_f32_e32 v31, -0.5, v16
	v_fmac_f32_e32 v46, 0x3e9e377a, v51
	v_fmac_f32_e32 v28, 0x3e9e377a, v51
	;; [unrolled: 1-line block ×4, first 2 shown]
	v_fmamk_f32 v21, v12, 0x3f737871, v20
	v_sub_f32_e32 v16, v23, v27
	v_sub_f32_e32 v22, v15, v19
	v_fmamk_f32 v51, v18, 0xbf737871, v31
	v_sub_f32_e32 v23, v27, v23
	v_sub_f32_e32 v25, v19, v15
	v_fmac_f32_e32 v31, 0x3f737871, v18
	v_fmac_f32_e32 v20, 0xbf737871, v12
	;; [unrolled: 1-line block ×3, first 2 shown]
	v_add_f32_e32 v16, v16, v22
	v_fmac_f32_e32 v51, 0x3f167918, v12
	v_add_f32_e32 v22, v23, v25
	v_fmac_f32_e32 v31, 0xbf167918, v12
	v_fmac_f32_e32 v20, 0xbf167918, v18
	v_add_f32_e32 v12, v14, v27
	v_fmac_f32_e32 v21, 0x3e9e377a, v16
	v_fmac_f32_e32 v51, 0x3e9e377a, v22
	;; [unrolled: 1-line block ×4, first 2 shown]
	v_add_f32_e32 v12, v12, v19
	v_mul_f32_e32 v25, 0xbf167918, v21
	v_mul_f32_e32 v26, 0xbf737871, v51
	;; [unrolled: 1-line block ×8, first 2 shown]
	v_add_f32_e32 v23, v12, v15
	v_fmac_f32_e32 v25, 0x3f4f1bbd, v13
	v_fmac_f32_e32 v26, 0x3e9e377a, v56
	;; [unrolled: 1-line block ×8, first 2 shown]
	v_add_f32_e32 v12, v53, v55
	v_add_f32_e32 v14, v45, v25
	v_add_f32_e32 v16, v46, v26
	v_add_f32_e32 v18, v28, v27
	v_add_f32_e32 v20, v44, v49
	v_add_f32_e32 v13, v54, v23
	v_add_f32_e32 v15, v48, v50
	v_add_f32_e32 v17, v24, v51
	v_add_f32_e32 v19, v29, v31
	v_add_f32_e32 v21, v47, v52
	v_sub_f32_e32 v22, v53, v55
	v_sub_f32_e32 v23, v54, v23
	s_barrier
	buffer_gl0_inv
	s_and_saveexec_b32 s1, vcc_lo
	s_cbranch_execz .LBB0_17
; %bb.16:
	v_and_b32_e32 v30, 0xffff, v42
	v_sub_f32_e32 v58, v24, v51
	v_sub_f32_e32 v56, v48, v50
	;; [unrolled: 1-line block ×4, first 2 shown]
	v_lshl_add_u32 v24, v30, 3, v38
	v_sub_f32_e32 v54, v47, v52
	v_sub_f32_e32 v52, v29, v31
	;; [unrolled: 1-line block ×4, first 2 shown]
	ds_write_b128 v24, v[12:15]
	ds_write_b128 v24, v[16:19] offset:16
	ds_write_b128 v24, v[20:23] offset:32
	;; [unrolled: 1-line block ×4, first 2 shown]
.LBB0_17:
	s_or_b32 exec_lo, exec_lo, s1
	s_waitcnt lgkmcnt(0)
	s_barrier
	buffer_gl0_inv
	s_and_saveexec_b32 s1, s0
	s_cbranch_execz .LBB0_19
; %bb.18:
	ds_read2_b64 v[12:15], v39 offset1:30
	ds_read2_b64 v[16:19], v39 offset0:60 offset1:90
	ds_read2_b64 v[20:23], v39 offset0:120 offset1:150
.LBB0_19:
	s_or_b32 exec_lo, exec_lo, s1
	s_waitcnt lgkmcnt(0)
	s_barrier
	buffer_gl0_inv
	s_and_saveexec_b32 s1, s0
	s_cbranch_execz .LBB0_21
; %bb.20:
	v_mul_f32_e32 v26, v1, v19
	v_mul_f32_e32 v1, v1, v18
	;; [unrolled: 1-line block ×6, first 2 shown]
	v_fma_f32 v19, v0, v19, -v1
	v_fma_f32 v23, v33, v23, -v27
	v_mul_f32_e32 v25, v3, v20
	v_mul_f32_e32 v5, v5, v15
	v_fmac_f32_e32 v26, v0, v18
	v_fmac_f32_e32 v28, v33, v22
	v_fma_f32 v0, v4, v15, -v29
	v_add_f32_e32 v15, v19, v23
	v_fma_f32 v24, v6, v17, -v24
	v_fma_f32 v25, v2, v21, -v25
	v_mul_f32_e32 v7, v7, v17
	v_mul_f32_e32 v17, v3, v21
	v_fmac_f32_e32 v5, v4, v14
	v_add_f32_e32 v3, v26, v28
	v_fma_f32 v4, -0.5, v15, v0
	v_sub_f32_e32 v14, v26, v28
	v_add_f32_e32 v1, v24, v25
	v_fmac_f32_e32 v7, v6, v16
	v_fmac_f32_e32 v17, v2, v20
	v_fma_f32 v2, -0.5, v3, v5
	v_sub_f32_e32 v3, v19, v23
	v_fmamk_f32 v6, v14, 0xbf5db3d7, v4
	v_fma_f32 v15, -0.5, v1, v13
	v_sub_f32_e32 v16, v7, v17
	v_fmac_f32_e32 v4, 0x3f5db3d7, v14
	v_fmamk_f32 v18, v3, 0x3f5db3d7, v2
	v_mul_f32_e32 v20, -0.5, v6
	v_fmac_f32_e32 v2, 0xbf5db3d7, v3
	v_add_f32_e32 v3, v7, v17
	v_add_f32_e32 v0, v0, v19
	v_mul_f32_e32 v6, 0xbf5db3d7, v6
	v_fmamk_f32 v14, v16, 0xbf5db3d7, v15
	v_fmac_f32_e32 v20, 0x3f5db3d7, v18
	v_mul_f32_e32 v21, 0.5, v4
	v_fmac_f32_e32 v15, 0x3f5db3d7, v16
	v_add_f32_e32 v13, v13, v24
	v_fma_f32 v16, -0.5, v3, v12
	v_sub_f32_e32 v19, v24, v25
	v_add_f32_e32 v23, v0, v23
	v_add_f32_e32 v0, v12, v7
	v_add_f32_e32 v7, v5, v26
	v_fmac_f32_e32 v6, -0.5, v18
	v_mul_f32_e32 v18, 0xbf5db3d7, v4
	v_and_b32_e32 v12, 0xfc, v43
	v_fmac_f32_e32 v21, 0x3f5db3d7, v2
	v_add_f32_e32 v22, v13, v25
	v_fmamk_f32 v24, v19, 0x3f5db3d7, v16
	v_add_f32_e32 v17, v0, v17
	v_add_f32_e32 v25, v7, v28
	v_fmac_f32_e32 v16, 0xbf5db3d7, v19
	v_fmac_f32_e32 v18, 0.5, v2
	v_add_nc_u32_e32 v2, v12, v41
	v_sub_f32_e32 v1, v14, v20
	v_sub_f32_e32 v3, v15, v21
	;; [unrolled: 1-line block ×3, first 2 shown]
	v_add_f32_e32 v7, v14, v20
	v_add_f32_e32 v13, v15, v21
	;; [unrolled: 1-line block ×5, first 2 shown]
	v_lshl_add_u32 v17, v2, 3, v38
	v_sub_f32_e32 v5, v22, v23
	v_sub_f32_e32 v0, v24, v6
	v_add_f32_e32 v6, v24, v6
	v_sub_f32_e32 v2, v16, v18
	ds_write2_b64 v17, v[14:15], v[12:13] offset1:10
	ds_write2_b64 v17, v[6:7], v[4:5] offset0:20 offset1:30
	ds_write2_b64 v17, v[2:3], v[0:1] offset0:40 offset1:50
.LBB0_21:
	s_or_b32 exec_lo, exec_lo, s1
	s_waitcnt lgkmcnt(0)
	s_barrier
	buffer_gl0_inv
	ds_read2_b64 v[0:3], v39 offset1:60
	ds_read_b64 v[4:5], v39 offset:960
	s_waitcnt lgkmcnt(1)
	v_mul_f32_e32 v6, v9, v3
	s_waitcnt lgkmcnt(0)
	v_mul_f32_e32 v7, v11, v5
	v_mul_f32_e32 v9, v9, v2
	;; [unrolled: 1-line block ×3, first 2 shown]
	v_fmac_f32_e32 v6, v8, v2
	v_fmac_f32_e32 v7, v10, v4
	v_fma_f32 v2, v8, v3, -v9
	v_fma_f32 v3, v10, v5, -v11
	v_add_f32_e32 v5, v0, v6
	v_add_f32_e32 v4, v6, v7
	;; [unrolled: 1-line block ×4, first 2 shown]
	v_sub_f32_e32 v9, v2, v3
	v_sub_f32_e32 v6, v6, v7
	v_fma_f32 v0, -0.5, v4, v0
	v_add_f32_e32 v2, v5, v7
	v_fma_f32 v1, -0.5, v8, v1
	v_add_f32_e32 v3, v10, v3
	v_fmamk_f32 v4, v9, 0xbf5db3d7, v0
	v_fmac_f32_e32 v0, 0x3f5db3d7, v9
	v_fmamk_f32 v5, v6, 0x3f5db3d7, v1
	v_fmac_f32_e32 v1, 0xbf5db3d7, v6
	ds_write2_b64 v40, v[2:3], v[4:5] offset1:60
	ds_write_b64 v40, v[0:1] offset:960
	s_waitcnt lgkmcnt(0)
	s_barrier
	buffer_gl0_inv
	s_and_b32 exec_lo, exec_lo, vcc_lo
	s_cbranch_execz .LBB0_23
; %bb.22:
	s_clause 0x9
	global_load_dwordx2 v[16:17], v36, s[10:11]
	global_load_dwordx2 v[18:19], v36, s[10:11] offset:144
	global_load_dwordx2 v[20:21], v36, s[10:11] offset:288
	;; [unrolled: 1-line block ×9, first 2 shown]
	v_mad_u64_u32 v[0:1], null, s6, v32, 0
	v_mad_u64_u32 v[2:3], null, s4, v37, 0
	ds_read_b64 v[40:41], v40
	s_mov_b32 s0, 0x16c16c17
	s_mov_b32 s1, 0x3f76c16c
	s_mul_i32 s2, s5, 0x90
	s_mul_hi_u32 s3, s4, 0x90
	s_mulk_i32 s4, 0x90
	v_mad_u64_u32 v[4:5], null, s7, v32, v[1:2]
	v_lshl_add_u32 v32, v35, 3, v36
	s_add_i32 s3, s3, s2
	ds_read_b64 v[48:49], v32 offset:1296
	v_mad_u64_u32 v[5:6], null, s5, v37, v[3:4]
	v_mov_b32_e32 v1, v4
	ds_read2_b64 v[8:11], v32 offset0:90 offset1:108
	ds_read2_b64 v[12:15], v32 offset0:126 offset1:144
	v_lshlrev_b64 v[0:1], 3, v[0:1]
	v_mov_b32_e32 v3, v5
	v_add_co_u32 v6, vcc_lo, s8, v0
	v_lshlrev_b64 v[4:5], 3, v[2:3]
	v_add_co_ci_u32_e32 v7, vcc_lo, s9, v1, vcc_lo
	ds_read2_b64 v[0:3], v32 offset0:18 offset1:36
	v_add_co_u32 v35, vcc_lo, v6, v4
	v_add_co_ci_u32_e32 v36, vcc_lo, v7, v5, vcc_lo
	ds_read2_b64 v[4:7], v32 offset0:54 offset1:72
	v_add_co_u32 v42, vcc_lo, v35, s4
	v_add_co_ci_u32_e32 v43, vcc_lo, s3, v36, vcc_lo
	v_add_co_u32 v44, vcc_lo, v42, s4
	v_add_co_ci_u32_e32 v45, vcc_lo, s3, v43, vcc_lo
	;; [unrolled: 2-line block ×4, first 2 shown]
	s_waitcnt vmcnt(9) lgkmcnt(5)
	v_mul_f32_e32 v32, v41, v17
	v_mul_f32_e32 v17, v40, v17
	s_waitcnt vmcnt(8) lgkmcnt(1)
	v_mul_f32_e32 v37, v1, v19
	v_mul_f32_e32 v19, v0, v19
	s_waitcnt vmcnt(7)
	v_mul_f32_e32 v52, v3, v21
	v_mul_f32_e32 v21, v2, v21
	s_waitcnt vmcnt(6) lgkmcnt(0)
	v_mul_f32_e32 v53, v5, v23
	v_mul_f32_e32 v23, v4, v23
	s_waitcnt vmcnt(5)
	v_mul_f32_e32 v54, v7, v25
	v_mul_f32_e32 v25, v6, v25
	s_waitcnt vmcnt(4)
	v_mul_f32_e32 v55, v9, v27
	v_mul_f32_e32 v27, v8, v27
	v_fmac_f32_e32 v32, v40, v16
	v_fma_f32 v16, v16, v41, -v17
	s_waitcnt vmcnt(3)
	v_mul_f32_e32 v56, v11, v29
	v_mul_f32_e32 v29, v10, v29
	v_fmac_f32_e32 v37, v0, v18
	v_fma_f32 v17, v18, v1, -v19
	;; [unrolled: 5-line block ×5, first 2 shown]
	v_fmac_f32_e32 v55, v8, v26
	v_fma_f32 v22, v26, v9, -v27
	v_cvt_f64_f32_e32 v[0:1], v32
	v_cvt_f64_f32_e32 v[2:3], v16
	v_fmac_f32_e32 v56, v10, v28
	v_fma_f32 v26, v28, v11, -v29
	v_cvt_f64_f32_e32 v[4:5], v37
	v_cvt_f64_f32_e32 v[6:7], v17
	;; [unrolled: 4-line block ×5, first 2 shown]
	v_cvt_f64_f32_e32 v[20:21], v55
	v_cvt_f64_f32_e32 v[22:23], v22
	;; [unrolled: 1-line block ×10, first 2 shown]
	v_mul_f64 v[0:1], v[0:1], s[0:1]
	v_mul_f64 v[2:3], v[2:3], s[0:1]
	;; [unrolled: 1-line block ×8, first 2 shown]
	v_add_co_u32 v52, vcc_lo, v50, s4
	v_mul_f64 v[16:17], v[16:17], s[0:1]
	v_mul_f64 v[18:19], v[18:19], s[0:1]
	;; [unrolled: 1-line block ×12, first 2 shown]
	v_cvt_f32_f64_e32 v0, v[0:1]
	v_cvt_f32_f64_e32 v1, v[2:3]
	;; [unrolled: 1-line block ×4, first 2 shown]
	v_add_co_ci_u32_e32 v53, vcc_lo, s3, v51, vcc_lo
	v_cvt_f32_f64_e32 v4, v[8:9]
	v_cvt_f32_f64_e32 v5, v[10:11]
	;; [unrolled: 1-line block ×6, first 2 shown]
	v_add_co_u32 v54, vcc_lo, v52, s4
	v_cvt_f32_f64_e32 v10, v[20:21]
	v_cvt_f32_f64_e32 v11, v[22:23]
	;; [unrolled: 1-line block ×4, first 2 shown]
	v_add_co_ci_u32_e32 v55, vcc_lo, s3, v53, vcc_lo
	v_cvt_f32_f64_e32 v14, v[28:29]
	v_cvt_f32_f64_e32 v15, v[30:31]
	;; [unrolled: 1-line block ×6, first 2 shown]
	v_add_co_u32 v20, vcc_lo, v54, s4
	v_add_co_ci_u32_e32 v21, vcc_lo, s3, v55, vcc_lo
	v_add_co_u32 v22, vcc_lo, v20, s4
	v_add_co_ci_u32_e32 v23, vcc_lo, s3, v21, vcc_lo
	;; [unrolled: 2-line block ×3, first 2 shown]
	global_store_dwordx2 v[35:36], v[0:1], off
	global_store_dwordx2 v[42:43], v[2:3], off
	;; [unrolled: 1-line block ×10, first 2 shown]
.LBB0_23:
	s_endpgm
	.section	.rodata,"a",@progbits
	.p2align	6, 0x0
	.amdhsa_kernel bluestein_single_fwd_len180_dim1_sp_op_CI_CI
		.amdhsa_group_segment_fixed_size 5760
		.amdhsa_private_segment_fixed_size 0
		.amdhsa_kernarg_size 104
		.amdhsa_user_sgpr_count 6
		.amdhsa_user_sgpr_private_segment_buffer 1
		.amdhsa_user_sgpr_dispatch_ptr 0
		.amdhsa_user_sgpr_queue_ptr 0
		.amdhsa_user_sgpr_kernarg_segment_ptr 1
		.amdhsa_user_sgpr_dispatch_id 0
		.amdhsa_user_sgpr_flat_scratch_init 0
		.amdhsa_user_sgpr_private_segment_size 0
		.amdhsa_wavefront_size32 1
		.amdhsa_uses_dynamic_stack 0
		.amdhsa_system_sgpr_private_segment_wavefront_offset 0
		.amdhsa_system_sgpr_workgroup_id_x 1
		.amdhsa_system_sgpr_workgroup_id_y 0
		.amdhsa_system_sgpr_workgroup_id_z 0
		.amdhsa_system_sgpr_workgroup_info 0
		.amdhsa_system_vgpr_workitem_id 0
		.amdhsa_next_free_vgpr 95
		.amdhsa_next_free_sgpr 16
		.amdhsa_reserve_vcc 1
		.amdhsa_reserve_flat_scratch 0
		.amdhsa_float_round_mode_32 0
		.amdhsa_float_round_mode_16_64 0
		.amdhsa_float_denorm_mode_32 3
		.amdhsa_float_denorm_mode_16_64 3
		.amdhsa_dx10_clamp 1
		.amdhsa_ieee_mode 1
		.amdhsa_fp16_overflow 0
		.amdhsa_workgroup_processor_mode 1
		.amdhsa_memory_ordered 1
		.amdhsa_forward_progress 0
		.amdhsa_shared_vgpr_count 0
		.amdhsa_exception_fp_ieee_invalid_op 0
		.amdhsa_exception_fp_denorm_src 0
		.amdhsa_exception_fp_ieee_div_zero 0
		.amdhsa_exception_fp_ieee_overflow 0
		.amdhsa_exception_fp_ieee_underflow 0
		.amdhsa_exception_fp_ieee_inexact 0
		.amdhsa_exception_int_div_zero 0
	.end_amdhsa_kernel
	.text
.Lfunc_end0:
	.size	bluestein_single_fwd_len180_dim1_sp_op_CI_CI, .Lfunc_end0-bluestein_single_fwd_len180_dim1_sp_op_CI_CI
                                        ; -- End function
	.section	.AMDGPU.csdata,"",@progbits
; Kernel info:
; codeLenInByte = 5904
; NumSgprs: 18
; NumVgprs: 95
; ScratchSize: 0
; MemoryBound: 0
; FloatMode: 240
; IeeeMode: 1
; LDSByteSize: 5760 bytes/workgroup (compile time only)
; SGPRBlocks: 2
; VGPRBlocks: 11
; NumSGPRsForWavesPerEU: 18
; NumVGPRsForWavesPerEU: 95
; Occupancy: 10
; WaveLimiterHint : 1
; COMPUTE_PGM_RSRC2:SCRATCH_EN: 0
; COMPUTE_PGM_RSRC2:USER_SGPR: 6
; COMPUTE_PGM_RSRC2:TRAP_HANDLER: 0
; COMPUTE_PGM_RSRC2:TGID_X_EN: 1
; COMPUTE_PGM_RSRC2:TGID_Y_EN: 0
; COMPUTE_PGM_RSRC2:TGID_Z_EN: 0
; COMPUTE_PGM_RSRC2:TIDIG_COMP_CNT: 0
	.text
	.p2alignl 6, 3214868480
	.fill 48, 4, 3214868480
	.type	__hip_cuid_fa0b32f23dc90c85,@object ; @__hip_cuid_fa0b32f23dc90c85
	.section	.bss,"aw",@nobits
	.globl	__hip_cuid_fa0b32f23dc90c85
__hip_cuid_fa0b32f23dc90c85:
	.byte	0                               ; 0x0
	.size	__hip_cuid_fa0b32f23dc90c85, 1

	.ident	"AMD clang version 19.0.0git (https://github.com/RadeonOpenCompute/llvm-project roc-6.4.0 25133 c7fe45cf4b819c5991fe208aaa96edf142730f1d)"
	.section	".note.GNU-stack","",@progbits
	.addrsig
	.addrsig_sym __hip_cuid_fa0b32f23dc90c85
	.amdgpu_metadata
---
amdhsa.kernels:
  - .args:
      - .actual_access:  read_only
        .address_space:  global
        .offset:         0
        .size:           8
        .value_kind:     global_buffer
      - .actual_access:  read_only
        .address_space:  global
        .offset:         8
        .size:           8
        .value_kind:     global_buffer
      - .actual_access:  read_only
        .address_space:  global
        .offset:         16
        .size:           8
        .value_kind:     global_buffer
      - .actual_access:  read_only
        .address_space:  global
        .offset:         24
        .size:           8
        .value_kind:     global_buffer
      - .actual_access:  read_only
        .address_space:  global
        .offset:         32
        .size:           8
        .value_kind:     global_buffer
      - .offset:         40
        .size:           8
        .value_kind:     by_value
      - .address_space:  global
        .offset:         48
        .size:           8
        .value_kind:     global_buffer
      - .address_space:  global
        .offset:         56
        .size:           8
        .value_kind:     global_buffer
      - .address_space:  global
        .offset:         64
        .size:           8
        .value_kind:     global_buffer
      - .address_space:  global
        .offset:         72
        .size:           8
        .value_kind:     global_buffer
      - .offset:         80
        .size:           4
        .value_kind:     by_value
      - .address_space:  global
        .offset:         88
        .size:           8
        .value_kind:     global_buffer
      - .address_space:  global
        .offset:         96
        .size:           8
        .value_kind:     global_buffer
    .group_segment_fixed_size: 5760
    .kernarg_segment_align: 8
    .kernarg_segment_size: 104
    .language:       OpenCL C
    .language_version:
      - 2
      - 0
    .max_flat_workgroup_size: 240
    .name:           bluestein_single_fwd_len180_dim1_sp_op_CI_CI
    .private_segment_fixed_size: 0
    .sgpr_count:     18
    .sgpr_spill_count: 0
    .symbol:         bluestein_single_fwd_len180_dim1_sp_op_CI_CI.kd
    .uniform_work_group_size: 1
    .uses_dynamic_stack: false
    .vgpr_count:     95
    .vgpr_spill_count: 0
    .wavefront_size: 32
    .workgroup_processor_mode: 1
amdhsa.target:   amdgcn-amd-amdhsa--gfx1030
amdhsa.version:
  - 1
  - 2
...

	.end_amdgpu_metadata
